;; amdgpu-corpus repo=ROCm/rocFFT kind=compiled arch=gfx906 opt=O3
	.text
	.amdgcn_target "amdgcn-amd-amdhsa--gfx906"
	.amdhsa_code_object_version 6
	.protected	fft_rtc_back_len1800_factors_10_6_10_3_wgs_180_tpt_180_halfLds_dp_ip_CI_unitstride_sbrr_dirReg ; -- Begin function fft_rtc_back_len1800_factors_10_6_10_3_wgs_180_tpt_180_halfLds_dp_ip_CI_unitstride_sbrr_dirReg
	.globl	fft_rtc_back_len1800_factors_10_6_10_3_wgs_180_tpt_180_halfLds_dp_ip_CI_unitstride_sbrr_dirReg
	.p2align	8
	.type	fft_rtc_back_len1800_factors_10_6_10_3_wgs_180_tpt_180_halfLds_dp_ip_CI_unitstride_sbrr_dirReg,@function
fft_rtc_back_len1800_factors_10_6_10_3_wgs_180_tpt_180_halfLds_dp_ip_CI_unitstride_sbrr_dirReg: ; @fft_rtc_back_len1800_factors_10_6_10_3_wgs_180_tpt_180_halfLds_dp_ip_CI_unitstride_sbrr_dirReg
; %bb.0:
	s_load_dwordx2 s[12:13], s[4:5], 0x50
	s_load_dwordx4 s[8:11], s[4:5], 0x0
	s_load_dwordx2 s[2:3], s[4:5], 0x18
	v_mul_u32_u24_e32 v1, 0x16d, v0
	v_add_u32_sdwa v5, s6, v1 dst_sel:DWORD dst_unused:UNUSED_PAD src0_sel:DWORD src1_sel:WORD_1
	v_mov_b32_e32 v3, 0
	s_waitcnt lgkmcnt(0)
	v_cmp_lt_u64_e64 s[0:1], s[10:11], 2
	v_mov_b32_e32 v1, 0
	v_mov_b32_e32 v6, v3
	s_and_b64 vcc, exec, s[0:1]
	v_mov_b32_e32 v2, 0
	s_cbranch_vccnz .LBB0_8
; %bb.1:
	s_load_dwordx2 s[0:1], s[4:5], 0x10
	s_add_u32 s6, s2, 8
	s_addc_u32 s7, s3, 0
	v_mov_b32_e32 v1, 0
	v_mov_b32_e32 v2, 0
	s_waitcnt lgkmcnt(0)
	s_add_u32 s14, s0, 8
	s_addc_u32 s15, s1, 0
	s_mov_b64 s[16:17], 1
.LBB0_2:                                ; =>This Inner Loop Header: Depth=1
	s_load_dwordx2 s[18:19], s[14:15], 0x0
                                        ; implicit-def: $vgpr7_vgpr8
	s_waitcnt lgkmcnt(0)
	v_or_b32_e32 v4, s19, v6
	v_cmp_ne_u64_e32 vcc, 0, v[3:4]
	s_and_saveexec_b64 s[0:1], vcc
	s_xor_b64 s[20:21], exec, s[0:1]
	s_cbranch_execz .LBB0_4
; %bb.3:                                ;   in Loop: Header=BB0_2 Depth=1
	v_cvt_f32_u32_e32 v4, s18
	v_cvt_f32_u32_e32 v7, s19
	s_sub_u32 s0, 0, s18
	s_subb_u32 s1, 0, s19
	v_mac_f32_e32 v4, 0x4f800000, v7
	v_rcp_f32_e32 v4, v4
	v_mul_f32_e32 v4, 0x5f7ffffc, v4
	v_mul_f32_e32 v7, 0x2f800000, v4
	v_trunc_f32_e32 v7, v7
	v_mac_f32_e32 v4, 0xcf800000, v7
	v_cvt_u32_f32_e32 v7, v7
	v_cvt_u32_f32_e32 v4, v4
	v_mul_lo_u32 v8, s0, v7
	v_mul_hi_u32 v9, s0, v4
	v_mul_lo_u32 v11, s1, v4
	v_mul_lo_u32 v10, s0, v4
	v_add_u32_e32 v8, v9, v8
	v_add_u32_e32 v8, v8, v11
	v_mul_hi_u32 v9, v4, v10
	v_mul_lo_u32 v11, v4, v8
	v_mul_hi_u32 v13, v4, v8
	v_mul_hi_u32 v12, v7, v10
	v_mul_lo_u32 v10, v7, v10
	v_mul_hi_u32 v14, v7, v8
	v_add_co_u32_e32 v9, vcc, v9, v11
	v_addc_co_u32_e32 v11, vcc, 0, v13, vcc
	v_mul_lo_u32 v8, v7, v8
	v_add_co_u32_e32 v9, vcc, v9, v10
	v_addc_co_u32_e32 v9, vcc, v11, v12, vcc
	v_addc_co_u32_e32 v10, vcc, 0, v14, vcc
	v_add_co_u32_e32 v8, vcc, v9, v8
	v_addc_co_u32_e32 v9, vcc, 0, v10, vcc
	v_add_co_u32_e32 v4, vcc, v4, v8
	v_addc_co_u32_e32 v7, vcc, v7, v9, vcc
	v_mul_lo_u32 v8, s0, v7
	v_mul_hi_u32 v9, s0, v4
	v_mul_lo_u32 v10, s1, v4
	v_mul_lo_u32 v11, s0, v4
	v_add_u32_e32 v8, v9, v8
	v_add_u32_e32 v8, v8, v10
	v_mul_lo_u32 v12, v4, v8
	v_mul_hi_u32 v13, v4, v11
	v_mul_hi_u32 v14, v4, v8
	;; [unrolled: 1-line block ×3, first 2 shown]
	v_mul_lo_u32 v11, v7, v11
	v_mul_hi_u32 v9, v7, v8
	v_add_co_u32_e32 v12, vcc, v13, v12
	v_addc_co_u32_e32 v13, vcc, 0, v14, vcc
	v_mul_lo_u32 v8, v7, v8
	v_add_co_u32_e32 v11, vcc, v12, v11
	v_addc_co_u32_e32 v10, vcc, v13, v10, vcc
	v_addc_co_u32_e32 v9, vcc, 0, v9, vcc
	v_add_co_u32_e32 v8, vcc, v10, v8
	v_addc_co_u32_e32 v9, vcc, 0, v9, vcc
	v_add_co_u32_e32 v4, vcc, v4, v8
	v_addc_co_u32_e32 v9, vcc, v7, v9, vcc
	v_mad_u64_u32 v[7:8], s[0:1], v5, v9, 0
	v_mul_hi_u32 v10, v5, v4
	v_add_co_u32_e32 v11, vcc, v10, v7
	v_addc_co_u32_e32 v12, vcc, 0, v8, vcc
	v_mad_u64_u32 v[7:8], s[0:1], v6, v4, 0
	v_mad_u64_u32 v[9:10], s[0:1], v6, v9, 0
	v_add_co_u32_e32 v4, vcc, v11, v7
	v_addc_co_u32_e32 v4, vcc, v12, v8, vcc
	v_addc_co_u32_e32 v7, vcc, 0, v10, vcc
	v_add_co_u32_e32 v4, vcc, v4, v9
	v_addc_co_u32_e32 v9, vcc, 0, v7, vcc
	v_mul_lo_u32 v10, s19, v4
	v_mul_lo_u32 v11, s18, v9
	v_mad_u64_u32 v[7:8], s[0:1], s18, v4, 0
	v_add3_u32 v8, v8, v11, v10
	v_sub_u32_e32 v10, v6, v8
	v_mov_b32_e32 v11, s19
	v_sub_co_u32_e32 v7, vcc, v5, v7
	v_subb_co_u32_e64 v10, s[0:1], v10, v11, vcc
	v_subrev_co_u32_e64 v11, s[0:1], s18, v7
	v_subbrev_co_u32_e64 v10, s[0:1], 0, v10, s[0:1]
	v_cmp_le_u32_e64 s[0:1], s19, v10
	v_cndmask_b32_e64 v12, 0, -1, s[0:1]
	v_cmp_le_u32_e64 s[0:1], s18, v11
	v_cndmask_b32_e64 v11, 0, -1, s[0:1]
	v_cmp_eq_u32_e64 s[0:1], s19, v10
	v_cndmask_b32_e64 v10, v12, v11, s[0:1]
	v_add_co_u32_e64 v11, s[0:1], 2, v4
	v_addc_co_u32_e64 v12, s[0:1], 0, v9, s[0:1]
	v_add_co_u32_e64 v13, s[0:1], 1, v4
	v_addc_co_u32_e64 v14, s[0:1], 0, v9, s[0:1]
	v_subb_co_u32_e32 v8, vcc, v6, v8, vcc
	v_cmp_ne_u32_e64 s[0:1], 0, v10
	v_cmp_le_u32_e32 vcc, s19, v8
	v_cndmask_b32_e64 v10, v14, v12, s[0:1]
	v_cndmask_b32_e64 v12, 0, -1, vcc
	v_cmp_le_u32_e32 vcc, s18, v7
	v_cndmask_b32_e64 v7, 0, -1, vcc
	v_cmp_eq_u32_e32 vcc, s19, v8
	v_cndmask_b32_e32 v7, v12, v7, vcc
	v_cmp_ne_u32_e32 vcc, 0, v7
	v_cndmask_b32_e64 v7, v13, v11, s[0:1]
	v_cndmask_b32_e32 v8, v9, v10, vcc
	v_cndmask_b32_e32 v7, v4, v7, vcc
.LBB0_4:                                ;   in Loop: Header=BB0_2 Depth=1
	s_andn2_saveexec_b64 s[0:1], s[20:21]
	s_cbranch_execz .LBB0_6
; %bb.5:                                ;   in Loop: Header=BB0_2 Depth=1
	v_cvt_f32_u32_e32 v4, s18
	s_sub_i32 s20, 0, s18
	v_rcp_iflag_f32_e32 v4, v4
	v_mul_f32_e32 v4, 0x4f7ffffe, v4
	v_cvt_u32_f32_e32 v4, v4
	v_mul_lo_u32 v7, s20, v4
	v_mul_hi_u32 v7, v4, v7
	v_add_u32_e32 v4, v4, v7
	v_mul_hi_u32 v4, v5, v4
	v_mul_lo_u32 v7, v4, s18
	v_add_u32_e32 v8, 1, v4
	v_sub_u32_e32 v7, v5, v7
	v_subrev_u32_e32 v9, s18, v7
	v_cmp_le_u32_e32 vcc, s18, v7
	v_cndmask_b32_e32 v7, v7, v9, vcc
	v_cndmask_b32_e32 v4, v4, v8, vcc
	v_add_u32_e32 v8, 1, v4
	v_cmp_le_u32_e32 vcc, s18, v7
	v_cndmask_b32_e32 v7, v4, v8, vcc
	v_mov_b32_e32 v8, v3
.LBB0_6:                                ;   in Loop: Header=BB0_2 Depth=1
	s_or_b64 exec, exec, s[0:1]
	v_mul_lo_u32 v4, v8, s18
	v_mul_lo_u32 v11, v7, s19
	v_mad_u64_u32 v[9:10], s[0:1], v7, s18, 0
	s_load_dwordx2 s[0:1], s[6:7], 0x0
	s_add_u32 s16, s16, 1
	v_add3_u32 v4, v10, v11, v4
	v_sub_co_u32_e32 v5, vcc, v5, v9
	v_subb_co_u32_e32 v4, vcc, v6, v4, vcc
	s_waitcnt lgkmcnt(0)
	v_mul_lo_u32 v4, s0, v4
	v_mul_lo_u32 v6, s1, v5
	v_mad_u64_u32 v[1:2], s[0:1], s0, v5, v[1:2]
	s_addc_u32 s17, s17, 0
	s_add_u32 s6, s6, 8
	v_add3_u32 v2, v6, v2, v4
	v_mov_b32_e32 v4, s10
	v_mov_b32_e32 v5, s11
	s_addc_u32 s7, s7, 0
	v_cmp_ge_u64_e32 vcc, s[16:17], v[4:5]
	s_add_u32 s14, s14, 8
	s_addc_u32 s15, s15, 0
	s_cbranch_vccnz .LBB0_9
; %bb.7:                                ;   in Loop: Header=BB0_2 Depth=1
	v_mov_b32_e32 v5, v7
	v_mov_b32_e32 v6, v8
	s_branch .LBB0_2
.LBB0_8:
	v_mov_b32_e32 v8, v6
	v_mov_b32_e32 v7, v5
.LBB0_9:
	s_lshl_b64 s[0:1], s[10:11], 3
	s_add_u32 s0, s2, s0
	s_addc_u32 s1, s3, s1
	s_load_dwordx2 s[2:3], s[0:1], 0x0
	s_load_dwordx2 s[6:7], s[4:5], 0x20
                                        ; implicit-def: $vgpr12_vgpr13
                                        ; implicit-def: $vgpr16_vgpr17
                                        ; implicit-def: $vgpr20_vgpr21
                                        ; implicit-def: $vgpr24_vgpr25
                                        ; implicit-def: $vgpr28_vgpr29
                                        ; implicit-def: $vgpr32_vgpr33
                                        ; implicit-def: $vgpr40_vgpr41
                                        ; implicit-def: $vgpr36_vgpr37
                                        ; implicit-def: $vgpr44_vgpr45
	s_waitcnt lgkmcnt(0)
	v_mad_u64_u32 v[1:2], s[0:1], s2, v7, v[1:2]
	v_mul_lo_u32 v3, s2, v8
	v_mul_lo_u32 v4, s3, v7
	s_mov_b32 s0, 0x16c16c2
	v_mul_hi_u32 v5, v0, s0
	v_cmp_gt_u64_e64 s[0:1], s[6:7], v[7:8]
	v_add3_u32 v2, v4, v2, v3
	v_lshlrev_b64 v[48:49], 4, v[1:2]
	v_mul_u32_u24_e32 v3, 0xb4, v5
	v_sub_u32_e32 v46, v0, v3
                                        ; implicit-def: $vgpr8_vgpr9
	s_and_saveexec_b64 s[2:3], s[0:1]
	s_cbranch_execz .LBB0_11
; %bb.10:
	v_mov_b32_e32 v47, 0
	v_mov_b32_e32 v0, s13
	v_add_co_u32_e32 v2, vcc, s12, v48
	v_addc_co_u32_e32 v3, vcc, v0, v49, vcc
	v_lshlrev_b64 v[0:1], 4, v[46:47]
	s_movk_i32 s4, 0x1000
	v_add_co_u32_e32 v0, vcc, v2, v0
	v_addc_co_u32_e32 v1, vcc, v3, v1, vcc
	v_add_co_u32_e32 v2, vcc, s4, v0
	v_addc_co_u32_e32 v3, vcc, 0, v1, vcc
	s_movk_i32 s4, 0x2000
	v_add_co_u32_e32 v4, vcc, s4, v0
	v_addc_co_u32_e32 v5, vcc, 0, v1, vcc
	s_movk_i32 s4, 0x3000
	;; [unrolled: 3-line block ×4, first 2 shown]
	v_add_co_u32_e32 v54, vcc, s4, v0
	v_addc_co_u32_e32 v55, vcc, 0, v1, vcc
	v_add_co_u32_e32 v56, vcc, 0x6000, v0
	v_addc_co_u32_e32 v57, vcc, 0, v1, vcc
	global_load_dwordx4 v[42:45], v[0:1], off
	global_load_dwordx4 v[34:37], v[0:1], off offset:2880
	global_load_dwordx4 v[38:41], v[2:3], off offset:1664
	global_load_dwordx4 v[30:33], v[4:5], off offset:448
	global_load_dwordx4 v[26:29], v[4:5], off offset:3328
	global_load_dwordx4 v[22:25], v[50:51], off offset:2112
	global_load_dwordx4 v[18:21], v[52:53], off offset:896
	global_load_dwordx4 v[14:17], v[52:53], off offset:3776
	global_load_dwordx4 v[10:13], v[54:55], off offset:2560
	global_load_dwordx4 v[6:9], v[56:57], off offset:1344
.LBB0_11:
	s_or_b64 exec, exec, s[2:3]
	s_waitcnt vmcnt(3)
	v_add_f64 v[0:1], v[18:19], v[26:27]
	s_waitcnt vmcnt(1)
	v_add_f64 v[2:3], v[10:11], v[38:39]
	v_add_f64 v[4:5], v[38:39], -v[26:27]
	v_add_f64 v[50:51], v[10:11], -v[18:19]
	;; [unrolled: 1-line block ×6, first 2 shown]
	v_fma_f64 v[0:1], v[0:1], -0.5, v[42:43]
	v_fma_f64 v[2:3], v[2:3], -0.5, v[42:43]
	s_mov_b32 s6, 0x134454ff
	s_mov_b32 s7, 0xbfee6f0e
	;; [unrolled: 1-line block ×4, first 2 shown]
	v_add_f64 v[4:5], v[50:51], v[4:5]
	v_add_f64 v[50:51], v[54:55], v[52:53]
	v_fma_f64 v[52:53], v[56:57], s[6:7], v[0:1]
	v_fma_f64 v[0:1], v[56:57], s[2:3], v[0:1]
	;; [unrolled: 1-line block ×4, first 2 shown]
	v_add_f64 v[60:61], v[14:15], v[22:23]
	s_mov_b32 s10, 0x4755a5e
	s_mov_b32 s11, 0xbfe2cf23
	;; [unrolled: 1-line block ×4, first 2 shown]
	v_fma_f64 v[52:53], v[58:59], s[10:11], v[52:53]
	v_fma_f64 v[0:1], v[58:59], s[4:5], v[0:1]
	;; [unrolled: 1-line block ×4, first 2 shown]
	v_fma_f64 v[56:57], v[60:61], -0.5, v[34:35]
	s_waitcnt vmcnt(0)
	v_add_f64 v[58:59], v[32:33], -v[8:9]
	v_add_f64 v[62:63], v[6:7], v[30:31]
	v_add_f64 v[60:61], v[30:31], -v[22:23]
	v_add_f64 v[64:65], v[6:7], -v[14:15]
	s_mov_b32 s14, 0x372fe950
	s_mov_b32 s15, 0x3fd3c6ef
	v_fma_f64 v[72:73], v[4:5], s[14:15], v[52:53]
	v_fma_f64 v[77:78], v[4:5], s[14:15], v[0:1]
	;; [unrolled: 1-line block ×5, first 2 shown]
	v_add_f64 v[2:3], v[24:25], -v[16:17]
	v_fma_f64 v[50:51], v[62:63], -0.5, v[34:35]
	v_fma_f64 v[54:55], v[58:59], s[2:3], v[56:57]
	v_add_f64 v[56:57], v[16:17], v[24:25]
	v_add_f64 v[52:53], v[64:65], v[60:61]
	v_add_f64 v[60:61], v[22:23], -v[30:31]
	v_add_f64 v[62:63], v[14:15], -v[6:7]
	v_add_f64 v[64:65], v[8:9], v[32:33]
	v_fma_f64 v[0:1], v[2:3], s[10:11], v[0:1]
	v_fma_f64 v[66:67], v[2:3], s[2:3], v[50:51]
	;; [unrolled: 1-line block ×4, first 2 shown]
	v_fma_f64 v[54:55], v[56:57], -0.5, v[36:37]
	v_add_f64 v[56:57], v[30:31], -v[6:7]
	v_add_f64 v[74:75], v[62:63], v[60:61]
	v_fma_f64 v[60:61], v[64:65], -0.5, v[36:37]
	v_add_f64 v[62:63], v[22:23], -v[14:15]
	v_fma_f64 v[64:65], v[58:59], s[10:11], v[66:67]
	v_fma_f64 v[50:51], v[58:59], s[4:5], v[50:51]
	v_add_f64 v[58:59], v[32:33], -v[24:25]
	v_add_f64 v[66:67], v[8:9], -v[16:17]
	v_fma_f64 v[68:69], v[56:57], s[2:3], v[54:55]
	v_add_f64 v[70:71], v[24:25], -v[32:33]
	v_add_f64 v[81:82], v[16:17], -v[8:9]
	v_fma_f64 v[83:84], v[62:63], s[6:7], v[60:61]
	v_add_f64 v[42:43], v[38:39], v[42:43]
	v_add_f64 v[30:31], v[30:31], v[34:35]
	v_fma_f64 v[34:35], v[62:63], s[2:3], v[60:61]
	v_fma_f64 v[54:55], v[56:57], s[6:7], v[54:55]
	v_add_f64 v[85:86], v[66:67], v[58:59]
	v_fma_f64 v[60:61], v[62:63], s[4:5], v[68:69]
	v_add_f64 v[66:67], v[81:82], v[70:71]
	;; [unrolled: 2-line block ×3, first 2 shown]
	v_add_f64 v[22:23], v[22:23], v[30:31]
	v_fma_f64 v[30:31], v[56:57], s[10:11], v[34:35]
	v_fma_f64 v[34:35], v[62:63], s[10:11], v[54:55]
	;; [unrolled: 1-line block ×6, first 2 shown]
	v_add_f64 v[0:1], v[18:19], v[42:43]
	v_add_f64 v[2:3], v[14:15], v[22:23]
	v_fma_f64 v[66:67], v[66:67], s[14:15], v[30:31]
	v_fma_f64 v[70:71], v[74:75], s[14:15], v[64:65]
	;; [unrolled: 1-line block ×3, first 2 shown]
	v_mul_f64 v[22:23], v[60:61], s[10:11]
	v_fma_f64 v[14:15], v[74:75], s[14:15], v[50:51]
	v_mul_f64 v[30:31], v[62:63], s[6:7]
	v_add_f64 v[34:35], v[10:11], v[0:1]
	v_add_f64 v[6:7], v[6:7], v[2:3]
	v_mul_f64 v[0:1], v[66:67], s[6:7]
	s_mov_b32 s16, 0x9b97f4a8
	v_mul_f64 v[2:3], v[64:65], s[10:11]
	s_mov_b32 s17, 0x3fe9e377
	v_fma_f64 v[22:23], v[68:69], s[16:17], v[22:23]
	s_mov_b32 s19, 0xbfd3c6ef
	s_mov_b32 s18, s14
	v_fma_f64 v[30:31], v[70:71], s[14:15], v[30:31]
	v_fma_f64 v[42:43], v[14:15], s[18:19], v[0:1]
	s_mov_b32 s19, 0xbfe9e377
	s_mov_b32 s18, s16
	v_fma_f64 v[81:82], v[58:59], s[18:19], v[2:3]
	v_add_f64 v[50:51], v[6:7], v[34:35]
	v_add_f64 v[52:53], v[72:73], v[22:23]
	v_add_f64 v[0:1], v[72:73], -v[22:23]
	v_add_f64 v[54:55], v[4:5], v[30:31]
	v_add_f64 v[56:57], v[79:80], v[42:43]
	v_add_f64 v[75:76], v[34:35], -v[6:7]
	v_add_f64 v[2:3], v[4:5], -v[30:31]
	v_add_f64 v[73:74], v[77:78], v[81:82]
	v_add_f64 v[4:5], v[79:80], -v[42:43]
	v_add_f64 v[6:7], v[77:78], -v[81:82]
	v_mul_u32_u24_e32 v22, 10, v46
	v_lshl_add_u32 v72, v22, 3, 0
	s_movk_i32 s18, 0xffb8
	v_mad_i32_i24 v30, v46, s18, v72
	ds_write_b128 v72, v[50:53]
	ds_write_b128 v72, v[54:57] offset:16
	ds_write_b128 v72, v[73:76] offset:32
	;; [unrolled: 1-line block ×4, first 2 shown]
	s_waitcnt lgkmcnt(0)
	s_barrier
	ds_read_b64 v[22:23], v30
	ds_read_b64 v[56:57], v30 offset:2400
	ds_read_b64 v[50:51], v30 offset:4800
	;; [unrolled: 1-line block ×5, first 2 shown]
	s_movk_i32 s18, 0x78
	v_mul_i32_i24_e32 v47, 0xffffffb8, v46
	v_cmp_gt_u32_e32 vcc, s18, v46
	v_add_u32_e32 v47, v72, v47
                                        ; implicit-def: $vgpr52_vgpr53
                                        ; implicit-def: $vgpr54_vgpr55
	s_and_saveexec_b64 s[18:19], vcc
	s_cbranch_execz .LBB0_13
; %bb.12:
	ds_read_b64 v[0:1], v47 offset:1440
	ds_read_b64 v[2:3], v47 offset:3840
	ds_read_b64 v[4:5], v47 offset:6240
	ds_read_b64 v[6:7], v47 offset:8640
	ds_read_b64 v[54:55], v47 offset:11040
	ds_read_b64 v[52:53], v47 offset:13440
.LBB0_13:
	s_or_b64 exec, exec, s[18:19]
	v_add_f64 v[73:74], v[20:21], v[28:29]
	v_add_f64 v[75:76], v[12:13], v[40:41]
	;; [unrolled: 1-line block ×3, first 2 shown]
	v_add_f64 v[10:11], v[38:39], -v[10:11]
	v_add_f64 v[18:19], v[26:27], -v[18:19]
	v_add_f64 v[32:33], v[32:33], v[36:37]
	v_add_f64 v[26:27], v[40:41], -v[28:29]
	v_add_f64 v[38:39], v[12:13], -v[20:21]
	v_fma_f64 v[73:74], v[73:74], -0.5, v[44:45]
	v_fma_f64 v[44:45], v[75:76], -0.5, v[44:45]
	v_add_f64 v[40:41], v[28:29], -v[40:41]
	v_add_f64 v[75:76], v[20:21], -v[12:13]
	v_mul_f64 v[36:37], v[68:69], s[4:5]
	v_mul_f64 v[68:69], v[70:71], s[2:3]
	v_add_f64 v[28:29], v[28:29], v[77:78]
	v_add_f64 v[24:25], v[24:25], v[32:33]
	v_fma_f64 v[70:71], v[10:11], s[2:3], v[73:74]
	v_fma_f64 v[77:78], v[18:19], s[6:7], v[44:45]
	v_fma_f64 v[44:45], v[18:19], s[2:3], v[44:45]
	v_fma_f64 v[73:74], v[10:11], s[6:7], v[73:74]
	v_add_f64 v[26:27], v[38:39], v[26:27]
	v_add_f64 v[32:33], v[75:76], v[40:41]
	v_add_f64 v[20:21], v[20:21], v[28:29]
	v_add_f64 v[16:17], v[16:17], v[24:25]
	v_fma_f64 v[28:29], v[18:19], s[4:5], v[70:71]
	v_fma_f64 v[38:39], v[10:11], s[4:5], v[77:78]
	;; [unrolled: 1-line block ×3, first 2 shown]
	v_mul_f64 v[24:25], v[66:67], s[14:15]
	v_fma_f64 v[18:19], v[18:19], s[10:11], v[73:74]
	v_mul_f64 v[40:41], v[64:65], s[16:17]
	v_add_f64 v[12:13], v[12:13], v[20:21]
	v_add_f64 v[8:9], v[8:9], v[16:17]
	v_fma_f64 v[20:21], v[26:27], s[14:15], v[28:29]
	v_fma_f64 v[44:45], v[32:33], s[14:15], v[38:39]
	;; [unrolled: 1-line block ×5, first 2 shown]
	v_fma_f64 v[14:15], v[14:15], s[2:3], -v[24:25]
	v_fma_f64 v[28:29], v[26:27], s[14:15], v[18:19]
	v_fma_f64 v[40:41], v[58:59], s[4:5], -v[40:41]
	v_add_f64 v[16:17], v[8:9], v[12:13]
	v_add_f64 v[38:39], v[12:13], -v[8:9]
	s_waitcnt lgkmcnt(0)
	v_add_f64 v[18:19], v[20:21], v[10:11]
	v_add_f64 v[24:25], v[44:45], v[60:61]
	;; [unrolled: 1-line block ×3, first 2 shown]
	v_add_f64 v[8:9], v[20:21], -v[10:11]
	v_add_f64 v[36:37], v[28:29], v[40:41]
	v_add_f64 v[10:11], v[44:45], -v[60:61]
	v_add_f64 v[12:13], v[32:33], -v[14:15]
	;; [unrolled: 1-line block ×3, first 2 shown]
	s_barrier
	ds_write_b128 v72, v[16:19]
	ds_write_b128 v72, v[24:27] offset:16
	ds_write_b128 v72, v[36:39] offset:32
	;; [unrolled: 1-line block ×4, first 2 shown]
	s_waitcnt lgkmcnt(0)
	s_barrier
	ds_read_b64 v[16:17], v47
	ds_read_b64 v[36:37], v47 offset:2400
	ds_read_b64 v[32:33], v47 offset:4800
	;; [unrolled: 1-line block ×5, first 2 shown]
                                        ; implicit-def: $vgpr24_vgpr25
                                        ; implicit-def: $vgpr26_vgpr27
	s_and_saveexec_b64 s[2:3], vcc
	s_cbranch_execz .LBB0_15
; %bb.14:
	ds_read_b64 v[8:9], v47 offset:1440
	ds_read_b64 v[10:11], v47 offset:3840
	;; [unrolled: 1-line block ×6, first 2 shown]
.LBB0_15:
	s_or_b64 exec, exec, s[2:3]
	s_movk_i32 s2, 0xcd
	v_mul_lo_u16_sdwa v38, v46, s2 dst_sel:DWORD dst_unused:UNUSED_PAD src0_sel:BYTE_0 src1_sel:DWORD
	v_lshrrev_b16_e32 v44, 11, v38
	v_add_u32_e32 v76, 0xb4, v46
	s_mov_b32 s2, 0xcccd
	v_mul_lo_u16_e32 v38, 10, v44
	v_mul_u32_u24_sdwa v66, v76, s2 dst_sel:DWORD dst_unused:UNUSED_PAD src0_sel:WORD_0 src1_sel:DWORD
	v_sub_u16_e32 v45, v46, v38
	v_mov_b32_e32 v38, 5
	v_lshrrev_b32_e32 v71, 19, v66
	v_mul_u32_u24_sdwa v38, v45, v38 dst_sel:DWORD dst_unused:UNUSED_PAD src0_sel:BYTE_0 src1_sel:DWORD
	v_mul_lo_u16_e32 v66, 10, v71
	v_lshlrev_b32_e32 v70, 4, v38
	v_sub_u16_e32 v117, v76, v66
	global_load_dwordx4 v[38:41], v70, s[8:9]
	global_load_dwordx4 v[58:61], v70, s[8:9] offset:16
	global_load_dwordx4 v[62:65], v70, s[8:9] offset:32
	v_mul_u32_u24_e32 v66, 5, v117
	v_lshlrev_b32_e32 v72, 4, v66
	global_load_dwordx4 v[66:69], v72, s[8:9] offset:16
	global_load_dwordx4 v[77:80], v72, s[8:9] offset:32
	;; [unrolled: 1-line block ×6, first 2 shown]
	global_load_dwordx4 v[97:100], v72, s[8:9]
	v_mov_b32_e32 v70, 3
	v_mul_u32_u24_e32 v44, 0x1e0, v44
	v_lshlrev_b32_sdwa v45, v70, v45 dst_sel:DWORD dst_unused:UNUSED_PAD src0_sel:DWORD src1_sel:BYTE_0
	v_mul_lo_u16_e32 v72, 60, v71
	v_add3_u32 v73, 0, v44, v45
	s_mov_b32 s2, 0xe8584caa
	s_mov_b32 s3, 0xbfebb67a
	;; [unrolled: 1-line block ×4, first 2 shown]
	s_waitcnt vmcnt(0) lgkmcnt(0)
	s_barrier
	v_mul_f64 v[101:102], v[12:13], v[68:69]
	v_mul_f64 v[44:45], v[36:37], v[40:41]
	;; [unrolled: 1-line block ×15, first 2 shown]
	v_fma_f64 v[111:112], v[56:57], v[38:39], v[44:45]
	v_mul_f64 v[115:116], v[10:11], v[99:100]
	v_fma_f64 v[44:45], v[50:51], v[58:59], v[70:71]
	v_fma_f64 v[50:51], v[32:33], v[58:59], -v[60:61]
	v_fma_f64 v[32:33], v[42:43], v[62:63], v[74:75]
	v_fma_f64 v[42:43], v[28:29], v[62:63], -v[64:65]
	;; [unrolled: 2-line block ×3, first 2 shown]
	v_mul_f64 v[68:69], v[4:5], v[68:69]
	v_mul_f64 v[109:110], v[26:27], v[91:92]
	;; [unrolled: 1-line block ×3, first 2 shown]
	v_fma_f64 v[38:39], v[36:37], v[38:39], -v[40:41]
	v_mul_f64 v[99:100], v[2:3], v[99:100]
	v_fma_f64 v[40:41], v[14:15], v[77:78], -v[79:80]
	v_fma_f64 v[24:25], v[24:25], v[93:94], -v[95:96]
	v_fma_f64 v[36:37], v[4:5], v[66:67], v[101:102]
	v_fma_f64 v[4:5], v[18:19], v[81:82], -v[83:84]
	v_fma_f64 v[18:19], v[30:31], v[85:86], v[87:88]
	v_fma_f64 v[62:63], v[2:3], v[97:98], v[115:116]
	v_add_f64 v[2:3], v[42:43], v[6:7]
	v_fma_f64 v[28:29], v[12:13], v[66:67], -v[68:69]
	v_fma_f64 v[14:15], v[34:35], v[81:82], v[105:106]
	v_fma_f64 v[12:13], v[54:55], v[89:90], v[109:110]
	v_fma_f64 v[20:21], v[26:27], v[89:90], -v[91:92]
	v_fma_f64 v[58:59], v[52:53], v[93:94], v[113:114]
	v_fma_f64 v[26:27], v[10:11], v[97:98], -v[99:100]
	v_add_f64 v[54:55], v[40:41], v[24:25]
	v_add_f64 v[10:11], v[32:33], v[18:19]
	v_add_f64 v[30:31], v[32:33], -v[18:19]
	v_fma_f64 v[2:3], v[2:3], -0.5, v[38:39]
	v_add_f64 v[34:35], v[44:45], v[14:15]
	v_add_f64 v[52:53], v[22:23], v[44:45]
	v_add_f64 v[68:69], v[56:57], -v[58:59]
	v_add_f64 v[77:78], v[56:57], v[58:59]
	v_fma_f64 v[81:82], v[54:55], -0.5, v[26:27]
	v_add_f64 v[64:65], v[42:43], -v[6:7]
	v_fma_f64 v[10:11], v[10:11], -0.5, v[111:112]
	v_fma_f64 v[60:61], v[30:31], s[4:5], v[2:3]
	v_add_f64 v[32:33], v[111:112], v[32:33]
	v_add_f64 v[70:71], v[36:37], v[12:13]
	v_add_f64 v[79:80], v[40:41], -v[24:25]
	v_fma_f64 v[34:35], v[34:35], -0.5, v[22:23]
	v_add_f64 v[83:84], v[52:53], v[14:15]
	v_fma_f64 v[54:55], v[30:31], s[2:3], v[2:3]
	v_fma_f64 v[22:23], v[77:78], -0.5, v[62:63]
	v_fma_f64 v[52:53], v[68:69], s[4:5], v[81:82]
	v_fma_f64 v[30:31], v[68:69], s[2:3], v[81:82]
	v_add_f64 v[66:67], v[50:51], -v[4:5]
	v_fma_f64 v[2:3], v[64:65], s[2:3], v[10:11]
	v_fma_f64 v[10:11], v[64:65], s[4:5], v[10:11]
	v_mul_f64 v[64:65], v[60:61], s[2:3]
	v_add_f64 v[74:75], v[28:29], -v[20:21]
	v_add_f64 v[32:33], v[32:33], v[18:19]
	v_fma_f64 v[70:71], v[70:71], -0.5, v[0:1]
	v_mul_f64 v[68:69], v[54:55], s[2:3]
	v_fma_f64 v[18:19], v[79:80], s[2:3], v[22:23]
	v_fma_f64 v[22:23], v[79:80], s[4:5], v[22:23]
	v_mul_f64 v[77:78], v[52:53], s[2:3]
	v_mul_f64 v[79:80], v[30:31], s[2:3]
	v_fma_f64 v[81:82], v[66:67], s[2:3], v[34:35]
	v_fma_f64 v[85:86], v[2:3], 0.5, v[64:65]
	v_fma_f64 v[34:35], v[66:67], s[4:5], v[34:35]
	v_fma_f64 v[87:88], v[10:11], -0.5, v[68:69]
	v_fma_f64 v[64:65], v[74:75], s[2:3], v[70:71]
	v_fma_f64 v[66:67], v[74:75], s[4:5], v[70:71]
	v_fma_f64 v[68:69], v[18:19], 0.5, v[77:78]
	v_fma_f64 v[70:71], v[22:23], -0.5, v[79:80]
	v_add_f64 v[74:75], v[83:84], v[32:33]
	v_add_f64 v[79:80], v[81:82], v[85:86]
	v_add_f64 v[77:78], v[83:84], -v[32:33]
	v_add_f64 v[83:84], v[34:35], v[87:88]
	v_add_f64 v[81:82], v[81:82], -v[85:86]
	v_add_f64 v[85:86], v[34:35], -v[87:88]
	;; [unrolled: 1-line block ×4, first 2 shown]
	ds_write2_b64 v73, v[74:75], v[79:80] offset1:10
	ds_write2_b64 v73, v[83:84], v[77:78] offset0:20 offset1:30
	ds_write2_b64 v73, v[81:82], v[85:86] offset0:40 offset1:50
	v_lshlrev_b32_e32 v74, 3, v117
	s_and_saveexec_b64 s[6:7], vcc
	s_cbranch_execz .LBB0_17
; %bb.16:
	v_add_f64 v[0:1], v[0:1], v[36:37]
	v_add_f64 v[56:57], v[62:63], v[56:57]
	;; [unrolled: 1-line block ×7, first 2 shown]
	v_add_f64 v[0:1], v[0:1], -v[56:57]
	v_lshlrev_b32_e32 v56, 3, v72
	v_add3_u32 v56, 0, v74, v56
	ds_write2_b64 v56, v[64:65], v[62:63] offset1:10
	ds_write2_b64 v56, v[58:59], v[0:1] offset0:20 offset1:30
	ds_write2_b64 v56, v[32:33], v[34:35] offset0:40 offset1:50
.LBB0_17:
	s_or_b64 exec, exec, s[6:7]
	v_add_f64 v[0:1], v[50:51], v[4:5]
	v_add_f64 v[14:15], v[44:45], -v[14:15]
	v_add_f64 v[38:39], v[38:39], v[42:43]
	v_add_f64 v[44:45], v[28:29], v[20:21]
	;; [unrolled: 1-line block ×3, first 2 shown]
	v_mul_f64 v[42:43], v[60:61], 0.5
	v_add_f64 v[12:13], v[36:37], -v[12:13]
	v_mul_f64 v[36:37], v[30:31], -0.5
	v_fma_f64 v[0:1], v[0:1], -0.5, v[16:17]
	v_mul_f64 v[16:17], v[52:53], 0.5
	v_add_f64 v[6:7], v[38:39], v[6:7]
	v_fma_f64 v[38:39], v[44:45], -0.5, v[8:9]
	v_mul_f64 v[54:55], v[54:55], -0.5
	v_add_f64 v[4:5], v[50:51], v[4:5]
	v_fma_f64 v[2:3], v[2:3], s[4:5], v[42:43]
	v_fma_f64 v[42:43], v[22:23], s[4:5], v[36:37]
	v_fma_f64 v[52:53], v[14:15], s[4:5], v[0:1]
	v_fma_f64 v[30:31], v[18:19], s[4:5], v[16:17]
	v_fma_f64 v[0:1], v[14:15], s[2:3], v[0:1]
	v_fma_f64 v[44:45], v[12:13], s[4:5], v[38:39]
	v_fma_f64 v[50:51], v[12:13], s[2:3], v[38:39]
	v_fma_f64 v[10:11], v[10:11], s[4:5], v[54:55]
	v_add_f64 v[55:56], v[4:5], v[6:7]
	v_lshl_add_u32 v77, v46, 3, 0
	v_add_f64 v[57:58], v[52:53], v[2:3]
	v_add_f64 v[61:62], v[4:5], -v[6:7]
	v_add_u32_e32 v78, 0x400, v77
	v_add_f64 v[36:37], v[44:45], -v[30:31]
	v_add_f64 v[38:39], v[50:51], -v[42:43]
	v_add_f64 v[59:60], v[0:1], v[10:11]
	v_add_f64 v[63:64], v[52:53], -v[2:3]
	v_add_f64 v[65:66], v[0:1], -v[10:11]
	s_waitcnt lgkmcnt(0)
	s_barrier
	ds_read2_b64 v[14:17], v78 offset0:52 offset1:232
	ds_read_b64 v[18:19], v47
	ds_read_b64 v[22:23], v77 offset:4320
	v_add_u32_e32 v52, 0x1600, v47
	v_add_u32_e32 v53, 0x2000, v47
	;; [unrolled: 1-line block ×3, first 2 shown]
	ds_read2_b64 v[10:13], v52 offset0:16 offset1:196
	ds_read2_b64 v[4:7], v53 offset0:56 offset1:236
	;; [unrolled: 1-line block ×3, first 2 shown]
	s_waitcnt lgkmcnt(0)
	s_barrier
	ds_write2_b64 v73, v[55:56], v[57:58] offset1:10
	ds_write2_b64 v73, v[59:60], v[61:62] offset0:20 offset1:30
	ds_write2_b64 v73, v[63:64], v[65:66] offset0:40 offset1:50
	s_and_saveexec_b64 s[2:3], vcc
	s_cbranch_execz .LBB0_19
; %bb.18:
	v_add_f64 v[8:9], v[8:9], v[28:29]
	v_add_f64 v[26:27], v[26:27], v[40:41]
	;; [unrolled: 1-line block ×7, first 2 shown]
	v_add_f64 v[8:9], v[8:9], -v[20:21]
	v_lshlrev_b32_e32 v20, 3, v72
	v_add3_u32 v20, 0, v74, v20
	ds_write2_b64 v20, v[28:29], v[24:25] offset1:10
	ds_write2_b64 v20, v[26:27], v[8:9] offset0:20 offset1:30
	ds_write2_b64 v20, v[36:37], v[38:39] offset0:40 offset1:50
.LBB0_19:
	s_or_b64 exec, exec, s[2:3]
	s_movk_i32 s2, 0x89
	v_mul_lo_u16_sdwa v8, v46, s2 dst_sel:DWORD dst_unused:UNUSED_PAD src0_sel:BYTE_0 src1_sel:DWORD
	v_lshrrev_b16_e32 v8, 13, v8
	v_mul_lo_u16_e32 v9, 60, v8
	v_sub_u16_e32 v9, v46, v9
	v_mov_b32_e32 v20, 9
	v_mul_u32_u24_sdwa v20, v9, v20 dst_sel:DWORD dst_unused:UNUSED_PAD src0_sel:BYTE_0 src1_sel:DWORD
	v_lshlrev_b32_e32 v20, 4, v20
	s_waitcnt lgkmcnt(0)
	s_barrier
	global_load_dwordx4 v[24:27], v20, s[8:9] offset:800
	global_load_dwordx4 v[28:31], v20, s[8:9] offset:816
	;; [unrolled: 1-line block ×9, first 2 shown]
	ds_read2_b64 v[83:86], v78 offset0:52 offset1:232
	ds_read_b64 v[44:45], v77 offset:4320
	ds_read2_b64 v[87:90], v52 offset0:16 offset1:196
	ds_read2_b64 v[50:53], v53 offset0:56 offset1:236
	;; [unrolled: 1-line block ×3, first 2 shown]
	s_mov_b32 s16, 0x134454ff
	s_mov_b32 s17, 0xbfee6f0e
	s_mov_b32 s5, 0x3fee6f0e
	s_mov_b32 s4, s16
	s_mov_b32 s14, 0x4755a5e
	s_mov_b32 s15, 0xbfe2cf23
	s_mov_b32 s7, 0x3fe2cf23
	s_mov_b32 s6, s14
	s_mov_b32 s10, 0x372fe950
	s_mov_b32 s11, 0x3fd3c6ef
	s_mov_b32 s18, 0x9b97f4a8
	s_mov_b32 s19, 0x3fe9e377
	s_mov_b32 s3, 0xbfd3c6ef
	s_mov_b32 s2, s10
	s_waitcnt vmcnt(8) lgkmcnt(4)
	v_mul_f64 v[20:21], v[83:84], v[26:27]
	s_waitcnt vmcnt(7)
	v_mul_f64 v[54:55], v[85:86], v[30:31]
	v_mul_f64 v[26:27], v[14:15], v[26:27]
	s_waitcnt vmcnt(5) lgkmcnt(2)
	v_mul_f64 v[99:100], v[87:88], v[58:59]
	v_mul_f64 v[58:59], v[10:11], v[58:59]
	s_waitcnt vmcnt(3) lgkmcnt(1)
	v_mul_f64 v[103:104], v[50:51], v[66:67]
	v_mul_f64 v[30:31], v[16:17], v[30:31]
	;; [unrolled: 1-line block ×6, first 2 shown]
	s_waitcnt vmcnt(2)
	v_mul_f64 v[105:106], v[52:53], v[70:71]
	v_mul_f64 v[70:71], v[6:7], v[70:71]
	s_waitcnt vmcnt(1) lgkmcnt(0)
	v_mul_f64 v[107:108], v[91:92], v[74:75]
	v_mul_f64 v[74:75], v[0:1], v[74:75]
	s_waitcnt vmcnt(0)
	v_mul_f64 v[109:110], v[93:94], v[81:82]
	v_mul_f64 v[81:82], v[2:3], v[81:82]
	v_fma_f64 v[42:43], v[16:17], v[28:29], v[54:55]
	v_fma_f64 v[54:55], v[10:11], v[56:57], v[99:100]
	v_fma_f64 v[16:17], v[87:88], v[56:57], -v[58:59]
	v_fma_f64 v[56:57], v[4:5], v[64:65], v[103:104]
	v_mul_f64 v[66:67], v[4:5], v[66:67]
	v_fma_f64 v[14:15], v[14:15], v[24:25], v[20:21]
	v_fma_f64 v[20:21], v[83:84], v[24:25], -v[26:27]
	v_fma_f64 v[28:29], v[85:86], v[28:29], -v[30:31]
	v_fma_f64 v[83:84], v[22:23], v[40:41], v[95:96]
	v_fma_f64 v[22:23], v[44:45], v[40:41], -v[97:98]
	v_fma_f64 v[10:11], v[12:13], v[60:61], v[101:102]
	v_fma_f64 v[24:25], v[89:90], v[60:61], -v[62:63]
	v_fma_f64 v[26:27], v[91:92], v[72:73], -v[74:75]
	v_fma_f64 v[4:5], v[6:7], v[68:69], v[105:106]
	v_fma_f64 v[52:53], v[52:53], v[68:69], -v[70:71]
	v_fma_f64 v[58:59], v[0:1], v[72:73], v[107:108]
	v_fma_f64 v[0:1], v[2:3], v[79:80], v[109:110]
	v_fma_f64 v[30:31], v[93:94], v[79:80], -v[81:82]
	v_add_f64 v[6:7], v[54:55], v[56:57]
	v_fma_f64 v[50:51], v[50:51], v[64:65], -v[66:67]
	v_add_f64 v[12:13], v[28:29], -v[26:27]
	v_add_f64 v[44:45], v[42:43], -v[54:55]
	;; [unrolled: 1-line block ×4, first 2 shown]
	v_add_f64 v[62:63], v[42:43], v[58:59]
	v_add_f64 v[66:67], v[56:57], -v[58:59]
	v_add_f64 v[68:69], v[14:15], v[83:84]
	v_add_f64 v[70:71], v[10:11], v[4:5]
	v_add_f64 v[72:73], v[83:84], -v[10:11]
	v_add_f64 v[81:82], v[0:1], -v[4:5]
	v_add_f64 v[91:92], v[24:25], v[52:53]
	v_add_f64 v[99:100], v[22:23], v[30:31]
	v_fma_f64 v[6:7], v[6:7], -0.5, v[18:19]
	v_add_f64 v[2:3], v[18:19], v[42:43]
	v_add_f64 v[40:41], v[16:17], -v[50:51]
	v_add_f64 v[74:75], v[22:23], -v[30:31]
	v_add_f64 v[85:86], v[83:84], v[0:1]
	v_add_f64 v[87:88], v[10:11], -v[83:84]
	v_add_f64 v[83:84], v[83:84], -v[0:1]
	;; [unrolled: 1-line block ×5, first 2 shown]
	v_add_f64 v[44:45], v[44:45], v[60:61]
	v_fma_f64 v[18:19], v[62:63], -0.5, v[18:19]
	v_add_f64 v[60:61], v[64:65], v[66:67]
	v_add_f64 v[10:11], v[68:69], v[10:11]
	v_fma_f64 v[62:63], v[70:71], -0.5, v[14:15]
	v_add_f64 v[66:67], v[72:73], v[81:82]
	v_fma_f64 v[64:65], v[91:92], -0.5, v[20:21]
	v_fma_f64 v[70:71], v[99:100], -0.5, v[20:21]
	v_fma_f64 v[72:73], v[12:13], s[16:17], v[6:7]
	v_fma_f64 v[6:7], v[12:13], s[4:5], v[6:7]
	v_add_f64 v[79:80], v[24:25], -v[52:53]
	v_add_f64 v[89:90], v[4:5], -v[0:1]
	;; [unrolled: 1-line block ×4, first 2 shown]
	v_fma_f64 v[14:15], v[85:86], -0.5, v[14:15]
	v_add_f64 v[68:69], v[95:96], v[97:98]
	v_fma_f64 v[85:86], v[40:41], s[4:5], v[18:19]
	v_add_f64 v[4:5], v[10:11], v[4:5]
	v_fma_f64 v[10:11], v[74:75], s[16:17], v[62:63]
	v_fma_f64 v[95:96], v[83:84], s[4:5], v[64:65]
	;; [unrolled: 1-line block ×8, first 2 shown]
	v_add_f64 v[81:82], v[101:102], v[103:104]
	v_fma_f64 v[62:63], v[74:75], s[4:5], v[62:63]
	v_fma_f64 v[91:92], v[79:80], s[4:5], v[14:15]
	;; [unrolled: 1-line block ×3, first 2 shown]
	v_add_f64 v[0:1], v[4:5], v[0:1]
	v_fma_f64 v[4:5], v[79:80], s[14:15], v[10:11]
	v_fma_f64 v[10:11], v[93:94], s[6:7], v[95:96]
	v_fma_f64 v[85:86], v[44:45], s[10:11], v[72:73]
	v_fma_f64 v[6:7], v[44:45], s[10:11], v[6:7]
	v_fma_f64 v[14:15], v[79:80], s[16:17], v[14:15]
	v_fma_f64 v[44:45], v[83:84], s[14:15], v[70:71]
	v_fma_f64 v[12:13], v[12:13], s[6:7], v[18:19]
	v_fma_f64 v[18:19], v[83:84], s[6:7], v[97:98]
	v_add_f64 v[83:84], v[87:88], v[89:90]
	v_fma_f64 v[87:88], v[93:94], s[14:15], v[64:65]
	v_add_f64 v[2:3], v[2:3], v[54:55]
	v_fma_f64 v[72:73], v[68:69], s[10:11], v[10:11]
	v_fma_f64 v[10:11], v[79:80], s[6:7], v[62:63]
	;; [unrolled: 1-line block ×9, first 2 shown]
	v_add_f64 v[2:3], v[2:3], v[56:57]
	v_fma_f64 v[18:19], v[66:67], s[10:11], v[4:5]
	v_mul_f64 v[4:5], v[72:73], s[14:15]
	v_fma_f64 v[66:67], v[66:67], s[10:11], v[10:11]
	v_fma_f64 v[68:69], v[83:84], s[10:11], v[14:15]
	v_mul_f64 v[10:11], v[64:65], s[16:17]
	v_fma_f64 v[60:61], v[83:84], s[10:11], v[60:61]
	v_mul_f64 v[44:45], v[70:71], s[16:17]
	v_mul_f64 v[14:15], v[62:63], s[14:15]
	v_add_f64 v[2:3], v[2:3], v[58:59]
	v_fma_f64 v[4:5], v[18:19], s[18:19], v[4:5]
	ds_read_b64 v[74:75], v47
	s_waitcnt lgkmcnt(0)
	v_fma_f64 v[10:11], v[68:69], s[2:3], v[10:11]
	s_mov_b32 s3, 0xbfe9e377
	s_mov_b32 s2, s18
	v_fma_f64 v[44:45], v[60:61], s[10:11], v[44:45]
	v_fma_f64 v[14:15], v[66:67], s[2:3], v[14:15]
	v_add_f64 v[80:81], v[2:3], v[0:1]
	v_add_f64 v[82:83], v[85:86], v[4:5]
	v_add_f64 v[0:1], v[2:3], -v[0:1]
	v_add_f64 v[89:90], v[12:13], v[10:11]
	v_add_f64 v[2:3], v[85:86], -v[4:5]
	v_add_f64 v[10:11], v[12:13], -v[10:11]
	v_add_f64 v[87:88], v[40:41], v[44:45]
	v_add_f64 v[91:92], v[6:7], v[14:15]
	v_add_f64 v[4:5], v[40:41], -v[44:45]
	v_add_f64 v[40:41], v[6:7], -v[14:15]
	v_mov_b32_e32 v7, 3
	v_mul_u32_u24_e32 v6, 0x12c0, v8
	v_lshlrev_b32_sdwa v7, v7, v9 dst_sel:DWORD dst_unused:UNUSED_PAD src0_sel:DWORD src1_sel:BYTE_0
	v_add3_u32 v79, 0, v6, v7
	s_barrier
	ds_write2_b64 v79, v[80:81], v[82:83] offset1:60
	ds_write2_b64 v79, v[87:88], v[89:90] offset0:120 offset1:180
	v_add_u32_e32 v6, 0x400, v79
	v_add_u32_e32 v80, 0x800, v79
	;; [unrolled: 1-line block ×5, first 2 shown]
	ds_write2_b64 v6, v[91:92], v[0:1] offset0:112 offset1:172
	ds_write2_b64 v80, v[2:3], v[4:5] offset0:104 offset1:164
	;; [unrolled: 1-line block ×3, first 2 shown]
	s_waitcnt lgkmcnt(0)
	s_barrier
	ds_read_b64 v[44:45], v47
	ds_read2_b64 v[4:7], v82 offset0:24 offset1:204
	ds_read2_b64 v[8:11], v83 offset1:240
	ds_read2_b64 v[0:3], v78 offset0:52 offset1:232
	v_add_u32_e32 v78, 0x2a00, v47
	ds_read2_b64 v[12:15], v78 offset0:36 offset1:216
	v_cmp_gt_u32_e64 s[2:3], 60, v46
	s_and_saveexec_b64 s[20:21], s[2:3]
	s_cbranch_execz .LBB0_21
; %bb.20:
	ds_read_b64 v[40:41], v77 offset:4320
	ds_read_b64 v[32:33], v47 offset:9120
	;; [unrolled: 1-line block ×3, first 2 shown]
.LBB0_21:
	s_or_b64 exec, exec, s[20:21]
	v_add_f64 v[84:85], v[16:17], v[50:51]
	v_add_f64 v[86:87], v[28:29], v[26:27]
	;; [unrolled: 1-line block ×3, first 2 shown]
	v_add_f64 v[42:43], v[42:43], -v[58:59]
	v_add_f64 v[54:55], v[54:55], -v[56:57]
	v_add_f64 v[20:21], v[20:21], v[22:23]
	v_add_f64 v[56:57], v[28:29], -v[16:17]
	v_add_f64 v[58:59], v[26:27], -v[50:51]
	v_fma_f64 v[84:85], v[84:85], -0.5, v[74:75]
	v_fma_f64 v[74:75], v[86:87], -0.5, v[74:75]
	v_add_f64 v[28:29], v[16:17], -v[28:29]
	v_add_f64 v[86:87], v[50:51], -v[26:27]
	v_mul_f64 v[22:23], v[72:73], s[18:19]
	v_add_f64 v[16:17], v[88:89], v[16:17]
	v_add_f64 v[20:21], v[20:21], v[24:25]
	;; [unrolled: 1-line block ×3, first 2 shown]
	v_fma_f64 v[72:73], v[42:43], s[4:5], v[84:85]
	v_fma_f64 v[84:85], v[42:43], s[16:17], v[84:85]
	;; [unrolled: 1-line block ×4, first 2 shown]
	v_add_f64 v[28:29], v[28:29], v[86:87]
	v_add_f64 v[16:17], v[16:17], v[50:51]
	v_add_f64 v[20:21], v[20:21], v[52:53]
	v_mul_f64 v[58:59], v[62:63], s[18:19]
	v_fma_f64 v[50:51], v[54:55], s[6:7], v[72:73]
	v_fma_f64 v[54:55], v[54:55], s[14:15], v[84:85]
	;; [unrolled: 1-line block ×4, first 2 shown]
	v_mul_f64 v[70:71], v[70:71], s[10:11]
	v_mul_f64 v[52:53], v[64:65], s[10:11]
	v_add_f64 v[16:17], v[16:17], v[26:27]
	v_add_f64 v[20:21], v[20:21], v[30:31]
	v_fma_f64 v[26:27], v[24:25], s[10:11], v[50:51]
	v_fma_f64 v[24:25], v[24:25], s[10:11], v[54:55]
	v_fma_f64 v[50:51], v[28:29], s[10:11], v[56:57]
	v_fma_f64 v[28:29], v[28:29], s[10:11], v[42:43]
	v_fma_f64 v[18:19], v[18:19], s[6:7], v[22:23]
	v_fma_f64 v[42:43], v[66:67], s[6:7], -v[58:59]
	v_fma_f64 v[22:23], v[60:61], s[4:5], v[70:71]
	v_fma_f64 v[30:31], v[68:69], s[4:5], -v[52:53]
	v_add_f64 v[52:53], v[16:17], v[20:21]
	v_add_f64 v[16:17], v[16:17], -v[20:21]
	s_waitcnt lgkmcnt(0)
	s_barrier
	v_add_f64 v[54:55], v[26:27], v[18:19]
	v_add_f64 v[60:61], v[24:25], v[42:43]
	;; [unrolled: 1-line block ×4, first 2 shown]
	v_add_f64 v[18:19], v[26:27], -v[18:19]
	v_add_f64 v[20:21], v[50:51], -v[22:23]
	v_add_f64 v[22:23], v[28:29], -v[30:31]
	v_add_f64 v[42:43], v[24:25], -v[42:43]
	v_add_u32_e32 v24, 0x400, v79
	ds_write2_b64 v79, v[52:53], v[54:55] offset1:60
	ds_write2_b64 v79, v[56:57], v[58:59] offset0:120 offset1:180
	ds_write2_b64 v24, v[60:61], v[16:17] offset0:112 offset1:172
	;; [unrolled: 1-line block ×4, first 2 shown]
	s_waitcnt lgkmcnt(0)
	s_barrier
	ds_read_b64 v[52:53], v47
	ds_read2_b64 v[20:23], v82 offset0:24 offset1:204
	ds_read2_b64 v[24:27], v83 offset1:240
	v_add_u32_e32 v16, 0x400, v77
	ds_read2_b64 v[16:19], v16 offset0:52 offset1:232
	ds_read2_b64 v[28:31], v78 offset0:36 offset1:216
	s_and_saveexec_b64 s[4:5], s[2:3]
	s_cbranch_execz .LBB0_23
; %bb.22:
	ds_read_b64 v[42:43], v77 offset:4320
	ds_read_b64 v[36:37], v47 offset:9120
	;; [unrolled: 1-line block ×3, first 2 shown]
.LBB0_23:
	s_or_b64 exec, exec, s[4:5]
	s_and_saveexec_b64 s[4:5], s[0:1]
	s_cbranch_execz .LBB0_26
; %bb.24:
	v_add_u32_e32 v90, 0x168, v46
	v_lshlrev_b32_e32 v50, 1, v90
	v_mov_b32_e32 v51, 0
	v_lshlrev_b64 v[54:55], 4, v[50:51]
	v_mov_b32_e32 v47, s9
	v_add_co_u32_e32 v50, vcc, s8, v54
	v_addc_co_u32_e32 v54, vcc, v47, v55, vcc
	v_add_co_u32_e32 v62, vcc, 0x24e0, v50
	v_addc_co_u32_e32 v63, vcc, 0, v54, vcc
	;; [unrolled: 2-line block ×3, first 2 shown]
	v_lshlrev_b32_e32 v50, 1, v76
	global_load_dwordx4 v[54:57], v[64:65], off offset:1248
	global_load_dwordx4 v[58:61], v[62:63], off offset:16
	v_lshlrev_b64 v[62:63], 4, v[50:51]
	s_movk_i32 s0, 0x24e0
	v_add_co_u32_e32 v50, vcc, s8, v62
	v_addc_co_u32_e32 v62, vcc, v47, v63, vcc
	v_add_co_u32_e32 v70, vcc, s0, v50
	s_movk_i32 s6, 0x2000
	v_addc_co_u32_e32 v71, vcc, 0, v62, vcc
	v_add_co_u32_e32 v72, vcc, s6, v50
	v_addc_co_u32_e32 v73, vcc, 0, v62, vcc
	v_lshlrev_b32_e32 v50, 1, v46
	global_load_dwordx4 v[62:65], v[72:73], off offset:1248
	global_load_dwordx4 v[66:69], v[70:71], off offset:16
	v_lshlrev_b64 v[70:71], 4, v[50:51]
	s_mov_b32 s5, 0x3febb67a
	v_add_co_u32_e32 v50, vcc, s8, v70
	v_addc_co_u32_e32 v47, vcc, v47, v71, vcc
	v_add_co_u32_e32 v78, vcc, s0, v50
	v_addc_co_u32_e32 v79, vcc, 0, v47, vcc
	;; [unrolled: 2-line block ×3, first 2 shown]
	global_load_dwordx4 v[70:73], v[80:81], off offset:1248
	global_load_dwordx4 v[74:77], v[78:79], off offset:16
	s_mov_b32 s0, 0xe8584caa
	s_mov_b32 s1, 0xbfebb67a
	;; [unrolled: 1-line block ×3, first 2 shown]
	v_mov_b32_e32 v47, v51
	v_add_co_u32_e32 v48, vcc, s12, v48
	s_movk_i32 s7, 0x4000
	s_mov_b32 s10, 0x1b4e81b5
	s_waitcnt vmcnt(5)
	v_mul_f64 v[82:83], v[8:9], v[56:57]
	s_waitcnt vmcnt(4)
	v_mul_f64 v[84:85], v[14:15], v[60:61]
	s_waitcnt lgkmcnt(2)
	v_mul_f64 v[56:57], v[24:25], v[56:57]
	s_waitcnt lgkmcnt(0)
	v_mul_f64 v[60:61], v[30:31], v[60:61]
	v_fma_f64 v[24:25], v[24:25], v[54:55], -v[82:83]
	v_fma_f64 v[30:31], v[30:31], v[58:59], -v[84:85]
	v_fma_f64 v[8:9], v[8:9], v[54:55], v[56:57]
	v_fma_f64 v[14:15], v[14:15], v[58:59], v[60:61]
	s_waitcnt vmcnt(3)
	v_mul_f64 v[78:79], v[6:7], v[64:65]
	s_waitcnt vmcnt(2)
	v_mul_f64 v[80:81], v[12:13], v[68:69]
	v_mul_f64 v[64:65], v[22:23], v[64:65]
	;; [unrolled: 1-line block ×3, first 2 shown]
	v_fma_f64 v[22:23], v[22:23], v[62:63], -v[78:79]
	v_fma_f64 v[28:29], v[28:29], v[66:67], -v[80:81]
	v_fma_f64 v[6:7], v[6:7], v[62:63], v[64:65]
	v_fma_f64 v[12:13], v[12:13], v[66:67], v[68:69]
	v_add_f64 v[64:65], v[24:25], v[30:31]
	v_add_f64 v[66:67], v[8:9], -v[14:15]
	v_add_f64 v[68:69], v[18:19], v[24:25]
	s_waitcnt vmcnt(1)
	v_mul_f64 v[86:87], v[4:5], v[72:73]
	s_waitcnt vmcnt(0)
	v_mul_f64 v[88:89], v[10:11], v[76:77]
	v_mul_f64 v[72:73], v[20:21], v[72:73]
	;; [unrolled: 1-line block ×3, first 2 shown]
	v_add_f64 v[58:59], v[6:7], v[12:13]
	v_add_f64 v[54:55], v[16:17], v[22:23]
	;; [unrolled: 1-line block ×3, first 2 shown]
	v_add_f64 v[24:25], v[24:25], -v[30:31]
	v_fma_f64 v[20:21], v[20:21], v[70:71], -v[86:87]
	v_fma_f64 v[56:57], v[26:27], v[74:75], -v[88:89]
	v_fma_f64 v[4:5], v[4:5], v[70:71], v[72:73]
	v_fma_f64 v[60:61], v[10:11], v[74:75], v[76:77]
	v_add_f64 v[10:11], v[22:23], v[28:29]
	v_add_f64 v[70:71], v[8:9], v[14:15]
	v_add_f64 v[26:27], v[6:7], -v[12:13]
	v_add_f64 v[22:23], v[22:23], -v[28:29]
	v_add_f64 v[76:77], v[52:53], v[20:21]
	v_add_f64 v[72:73], v[20:21], v[56:57]
	v_add_f64 v[78:79], v[20:21], -v[56:57]
	v_add_f64 v[20:21], v[4:5], v[60:61]
	v_add_f64 v[8:9], v[2:3], v[8:9]
	v_fma_f64 v[16:17], v[10:11], -0.5, v[16:17]
	v_fma_f64 v[0:1], v[58:59], -0.5, v[0:1]
	v_add_f64 v[74:75], v[4:5], -v[60:61]
	v_add_f64 v[80:81], v[44:45], v[4:5]
	v_add_f64 v[6:7], v[54:55], v[28:29]
	v_fma_f64 v[28:29], v[64:65], -0.5, v[18:19]
	v_fma_f64 v[52:53], v[72:73], -0.5, v[52:53]
	;; [unrolled: 1-line block ×4, first 2 shown]
	v_add_f64 v[4:5], v[62:63], v[12:13]
	v_add_f64 v[8:9], v[8:9], v[14:15]
	v_fma_f64 v[14:15], v[26:27], s[0:1], v[16:17]
	v_fma_f64 v[18:19], v[26:27], s[4:5], v[16:17]
	;; [unrolled: 1-line block ×4, first 2 shown]
	v_mov_b32_e32 v0, s13
	v_add_f64 v[10:11], v[68:69], v[30:31]
	v_fma_f64 v[22:23], v[66:67], s[0:1], v[28:29]
	v_fma_f64 v[26:27], v[66:67], s[4:5], v[28:29]
	;; [unrolled: 1-line block ×4, first 2 shown]
	v_add_f64 v[58:59], v[76:77], v[56:57]
	v_fma_f64 v[28:29], v[78:79], s[4:5], v[44:45]
	v_fma_f64 v[52:53], v[78:79], s[0:1], v[44:45]
	v_add_f64 v[56:57], v[80:81], v[60:61]
	v_addc_co_u32_e32 v49, vcc, v0, v49, vcc
	v_lshlrev_b64 v[0:1], 4, v[46:47]
	v_fma_f64 v[20:21], v[24:25], s[4:5], v[2:3]
	v_add_co_u32_e32 v0, vcc, v48, v0
	v_addc_co_u32_e32 v1, vcc, v49, v1, vcc
	v_fma_f64 v[24:25], v[24:25], s[0:1], v[2:3]
	v_add_co_u32_e32 v2, vcc, s6, v0
	v_addc_co_u32_e32 v3, vcc, 0, v1, vcc
	v_add_co_u32_e32 v44, vcc, s7, v0
	v_addc_co_u32_e32 v45, vcc, 0, v1, vcc
	s_movk_i32 s7, 0x3000
	global_store_dwordx4 v[0:1], v[56:59], off
	global_store_dwordx4 v[2:3], v[52:55], off offset:1408
	global_store_dwordx4 v[44:45], v[28:31], off offset:2816
	;; [unrolled: 1-line block ×3, first 2 shown]
	s_nop 0
	v_add_co_u32_e32 v4, vcc, s7, v0
	v_mul_hi_u32 v6, v90, s10
	v_addc_co_u32_e32 v5, vcc, 0, v1, vcc
	s_movk_i32 s7, 0x5000
	global_store_dwordx4 v[4:5], v[16:19], off offset:192
	v_add_co_u32_e32 v4, vcc, s7, v0
	v_addc_co_u32_e32 v5, vcc, 0, v1, vcc
	global_store_dwordx4 v[4:5], v[12:15], off offset:1600
	v_lshrrev_b32_e32 v4, 6, v6
	s_movk_i32 s7, 0x4b0
	v_mad_u32_u24 v50, v4, s7, v90
	v_lshlrev_b64 v[4:5], 4, v[50:51]
	v_add_co_u32_e32 v4, vcc, v48, v4
	v_addc_co_u32_e32 v5, vcc, v49, v5, vcc
	v_add_co_u32_e32 v6, vcc, 0x2000, v4
	v_addc_co_u32_e32 v7, vcc, 0, v5, vcc
	global_store_dwordx4 v[4:5], v[8:11], off
	v_add_co_u32_e32 v4, vcc, 0x4000, v4
	v_addc_co_u32_e32 v5, vcc, 0, v5, vcc
	global_store_dwordx4 v[6:7], v[24:27], off offset:1408
	global_store_dwordx4 v[4:5], v[20:23], off offset:2816
	s_and_b64 exec, exec, s[2:3]
	s_cbranch_execz .LBB0_26
; %bb.25:
	v_not_b32_e32 v4, 59
	v_mov_b32_e32 v5, 0x21c
	v_cndmask_b32_e64 v4, v4, v5, s[2:3]
	v_add_lshl_u32 v50, v46, v4, 1
	v_lshlrev_b64 v[4:5], 4, v[50:51]
	v_mov_b32_e32 v6, s9
	v_add_co_u32_e32 v4, vcc, s8, v4
	v_addc_co_u32_e32 v5, vcc, v6, v5, vcc
	v_add_co_u32_e32 v12, vcc, 0x24e0, v4
	v_addc_co_u32_e32 v13, vcc, 0, v5, vcc
	v_add_co_u32_e32 v14, vcc, s6, v4
	v_addc_co_u32_e32 v15, vcc, 0, v5, vcc
	global_load_dwordx4 v[4:7], v[14:15], off offset:1248
	global_load_dwordx4 v[8:11], v[12:13], off offset:16
	v_add_co_u32_e32 v16, vcc, 0x4000, v0
	v_addc_co_u32_e32 v17, vcc, 0, v1, vcc
	v_add_co_u32_e32 v0, vcc, 0x6000, v0
	v_addc_co_u32_e32 v1, vcc, 0, v1, vcc
	s_waitcnt vmcnt(1)
	v_mul_f64 v[12:13], v[36:37], v[6:7]
	s_waitcnt vmcnt(0)
	v_mul_f64 v[14:15], v[38:39], v[10:11]
	v_mul_f64 v[6:7], v[32:33], v[6:7]
	;; [unrolled: 1-line block ×3, first 2 shown]
	v_fma_f64 v[12:13], v[32:33], v[4:5], v[12:13]
	v_fma_f64 v[14:15], v[34:35], v[8:9], v[14:15]
	v_fma_f64 v[4:5], v[36:37], v[4:5], -v[6:7]
	v_fma_f64 v[6:7], v[38:39], v[8:9], -v[10:11]
	v_add_f64 v[18:19], v[40:41], v[12:13]
	v_add_f64 v[8:9], v[12:13], v[14:15]
	;; [unrolled: 1-line block ×4, first 2 shown]
	v_add_f64 v[20:21], v[4:5], -v[6:7]
	v_add_f64 v[26:27], v[12:13], -v[14:15]
	v_add_f64 v[4:5], v[18:19], v[14:15]
	v_fma_f64 v[24:25], v[8:9], -0.5, v[40:41]
	v_add_f64 v[6:7], v[22:23], v[6:7]
	v_fma_f64 v[28:29], v[10:11], -0.5, v[42:43]
	v_fma_f64 v[8:9], v[20:21], s[0:1], v[24:25]
	v_fma_f64 v[12:13], v[20:21], s[4:5], v[24:25]
	;; [unrolled: 1-line block ×4, first 2 shown]
	global_store_dwordx4 v[2:3], v[4:7], off offset:448
	global_store_dwordx4 v[16:17], v[8:11], off offset:1856
	;; [unrolled: 1-line block ×3, first 2 shown]
.LBB0_26:
	s_endpgm
	.section	.rodata,"a",@progbits
	.p2align	6, 0x0
	.amdhsa_kernel fft_rtc_back_len1800_factors_10_6_10_3_wgs_180_tpt_180_halfLds_dp_ip_CI_unitstride_sbrr_dirReg
		.amdhsa_group_segment_fixed_size 0
		.amdhsa_private_segment_fixed_size 0
		.amdhsa_kernarg_size 88
		.amdhsa_user_sgpr_count 6
		.amdhsa_user_sgpr_private_segment_buffer 1
		.amdhsa_user_sgpr_dispatch_ptr 0
		.amdhsa_user_sgpr_queue_ptr 0
		.amdhsa_user_sgpr_kernarg_segment_ptr 1
		.amdhsa_user_sgpr_dispatch_id 0
		.amdhsa_user_sgpr_flat_scratch_init 0
		.amdhsa_user_sgpr_private_segment_size 0
		.amdhsa_uses_dynamic_stack 0
		.amdhsa_system_sgpr_private_segment_wavefront_offset 0
		.amdhsa_system_sgpr_workgroup_id_x 1
		.amdhsa_system_sgpr_workgroup_id_y 0
		.amdhsa_system_sgpr_workgroup_id_z 0
		.amdhsa_system_sgpr_workgroup_info 0
		.amdhsa_system_vgpr_workitem_id 0
		.amdhsa_next_free_vgpr 118
		.amdhsa_next_free_sgpr 22
		.amdhsa_reserve_vcc 1
		.amdhsa_reserve_flat_scratch 0
		.amdhsa_float_round_mode_32 0
		.amdhsa_float_round_mode_16_64 0
		.amdhsa_float_denorm_mode_32 3
		.amdhsa_float_denorm_mode_16_64 3
		.amdhsa_dx10_clamp 1
		.amdhsa_ieee_mode 1
		.amdhsa_fp16_overflow 0
		.amdhsa_exception_fp_ieee_invalid_op 0
		.amdhsa_exception_fp_denorm_src 0
		.amdhsa_exception_fp_ieee_div_zero 0
		.amdhsa_exception_fp_ieee_overflow 0
		.amdhsa_exception_fp_ieee_underflow 0
		.amdhsa_exception_fp_ieee_inexact 0
		.amdhsa_exception_int_div_zero 0
	.end_amdhsa_kernel
	.text
.Lfunc_end0:
	.size	fft_rtc_back_len1800_factors_10_6_10_3_wgs_180_tpt_180_halfLds_dp_ip_CI_unitstride_sbrr_dirReg, .Lfunc_end0-fft_rtc_back_len1800_factors_10_6_10_3_wgs_180_tpt_180_halfLds_dp_ip_CI_unitstride_sbrr_dirReg
                                        ; -- End function
	.section	.AMDGPU.csdata,"",@progbits
; Kernel info:
; codeLenInByte = 8040
; NumSgprs: 26
; NumVgprs: 118
; ScratchSize: 0
; MemoryBound: 1
; FloatMode: 240
; IeeeMode: 1
; LDSByteSize: 0 bytes/workgroup (compile time only)
; SGPRBlocks: 3
; VGPRBlocks: 29
; NumSGPRsForWavesPerEU: 26
; NumVGPRsForWavesPerEU: 118
; Occupancy: 2
; WaveLimiterHint : 1
; COMPUTE_PGM_RSRC2:SCRATCH_EN: 0
; COMPUTE_PGM_RSRC2:USER_SGPR: 6
; COMPUTE_PGM_RSRC2:TRAP_HANDLER: 0
; COMPUTE_PGM_RSRC2:TGID_X_EN: 1
; COMPUTE_PGM_RSRC2:TGID_Y_EN: 0
; COMPUTE_PGM_RSRC2:TGID_Z_EN: 0
; COMPUTE_PGM_RSRC2:TIDIG_COMP_CNT: 0
	.type	__hip_cuid_db84607ee00a8db,@object ; @__hip_cuid_db84607ee00a8db
	.section	.bss,"aw",@nobits
	.globl	__hip_cuid_db84607ee00a8db
__hip_cuid_db84607ee00a8db:
	.byte	0                               ; 0x0
	.size	__hip_cuid_db84607ee00a8db, 1

	.ident	"AMD clang version 19.0.0git (https://github.com/RadeonOpenCompute/llvm-project roc-6.4.0 25133 c7fe45cf4b819c5991fe208aaa96edf142730f1d)"
	.section	".note.GNU-stack","",@progbits
	.addrsig
	.addrsig_sym __hip_cuid_db84607ee00a8db
	.amdgpu_metadata
---
amdhsa.kernels:
  - .args:
      - .actual_access:  read_only
        .address_space:  global
        .offset:         0
        .size:           8
        .value_kind:     global_buffer
      - .offset:         8
        .size:           8
        .value_kind:     by_value
      - .actual_access:  read_only
        .address_space:  global
        .offset:         16
        .size:           8
        .value_kind:     global_buffer
      - .actual_access:  read_only
        .address_space:  global
        .offset:         24
        .size:           8
        .value_kind:     global_buffer
      - .offset:         32
        .size:           8
        .value_kind:     by_value
      - .actual_access:  read_only
        .address_space:  global
        .offset:         40
        .size:           8
        .value_kind:     global_buffer
      - .actual_access:  read_only
        .address_space:  global
        .offset:         48
        .size:           8
        .value_kind:     global_buffer
      - .offset:         56
        .size:           4
        .value_kind:     by_value
      - .actual_access:  read_only
        .address_space:  global
        .offset:         64
        .size:           8
        .value_kind:     global_buffer
      - .actual_access:  read_only
        .address_space:  global
        .offset:         72
        .size:           8
        .value_kind:     global_buffer
      - .address_space:  global
        .offset:         80
        .size:           8
        .value_kind:     global_buffer
    .group_segment_fixed_size: 0
    .kernarg_segment_align: 8
    .kernarg_segment_size: 88
    .language:       OpenCL C
    .language_version:
      - 2
      - 0
    .max_flat_workgroup_size: 180
    .name:           fft_rtc_back_len1800_factors_10_6_10_3_wgs_180_tpt_180_halfLds_dp_ip_CI_unitstride_sbrr_dirReg
    .private_segment_fixed_size: 0
    .sgpr_count:     26
    .sgpr_spill_count: 0
    .symbol:         fft_rtc_back_len1800_factors_10_6_10_3_wgs_180_tpt_180_halfLds_dp_ip_CI_unitstride_sbrr_dirReg.kd
    .uniform_work_group_size: 1
    .uses_dynamic_stack: false
    .vgpr_count:     118
    .vgpr_spill_count: 0
    .wavefront_size: 64
amdhsa.target:   amdgcn-amd-amdhsa--gfx906
amdhsa.version:
  - 1
  - 2
...

	.end_amdgpu_metadata
